;; amdgpu-corpus repo=zjin-lcf/HeCBench kind=compiled arch=gfx90a opt=O3
	.text
	.amdgcn_target "amdgcn-amd-amdhsa--gfx90a"
	.amdhsa_code_object_version 6
	.protected	_Z19tausworthe_lookbackjPKjPfS1_PKfS3_S3_S3_S3_S3_S3_ ; -- Begin function _Z19tausworthe_lookbackjPKjPfS1_PKfS3_S3_S3_S3_S3_S3_
	.globl	_Z19tausworthe_lookbackjPKjPfS1_PKfS3_S3_S3_S3_S3_S3_
	.p2align	8
	.type	_Z19tausworthe_lookbackjPKjPfS1_PKfS3_S3_S3_S3_S3_S3_,@function
_Z19tausworthe_lookbackjPKjPfS1_PKfS3_S3_S3_S3_S3_S3_: ; @_Z19tausworthe_lookbackjPKjPfS1_PKfS3_S3_S3_S3_S3_S3_
; %bb.0:
	s_load_dword s7, s[4:5], 0x64
	s_load_dwordx4 s[0:3], s[4:5], 0x48
	s_load_dwordx8 s[16:23], s[4:5], 0x28
	s_load_dwordx8 s[8:15], s[4:5], 0x8
	v_mov_b32_e32 v5, 0
	s_waitcnt lgkmcnt(0)
	s_and_b32 s7, s7, 0xffff
	s_mul_i32 s6, s6, s7
	v_add_u32_e32 v4, s6, v0
	v_lshlrev_b64 v[2:3], 2, v[4:5]
	v_mov_b32_e32 v1, s9
	v_add_co_u32_e32 v10, vcc, s8, v2
	v_add_u32_e32 v6, 0x100000, v4
	v_mov_b32_e32 v7, v5
	v_addc_co_u32_e32 v11, vcc, v1, v3, vcc
	v_lshlrev_b64 v[6:7], 2, v[6:7]
	v_add_co_u32_e32 v12, vcc, s8, v6
	v_addc_co_u32_e32 v13, vcc, v1, v7, vcc
	v_add_u32_e32 v6, 0x200000, v4
	v_mov_b32_e32 v7, v5
	v_lshlrev_b64 v[6:7], 2, v[6:7]
	v_add_co_u32_e32 v14, vcc, s8, v6
	v_add_u32_e32 v4, 0x300000, v4
	v_addc_co_u32_e32 v15, vcc, v1, v7, vcc
	v_lshlrev_b64 v[6:7], 2, v[4:5]
	v_add_co_u32_e32 v16, vcc, s8, v6
	v_addc_co_u32_e32 v17, vcc, v1, v7, vcc
	global_load_dword v7, v[10:11], off
	global_load_dword v1, v[12:13], off
	global_load_dword v8, v[14:15], off
	global_load_dword v36, v[16:17], off
	v_mov_b32_e32 v4, s15
	v_add_co_u32_e32 v10, vcc, s14, v2
	v_addc_co_u32_e32 v11, vcc, v4, v3, vcc
	global_load_dword v6, v[10:11], off
	v_mov_b32_e32 v4, s17
	v_add_co_u32_e32 v10, vcc, s16, v2
	v_addc_co_u32_e32 v11, vcc, v4, v3, vcc
	global_load_dword v9, v[10:11], off
	v_mov_b32_e32 v4, s19
	v_add_co_u32_e32 v10, vcc, s18, v2
	v_addc_co_u32_e32 v11, vcc, v4, v3, vcc
	v_mov_b32_e32 v4, s21
	v_add_co_u32_e32 v12, vcc, s20, v2
	v_addc_co_u32_e32 v13, vcc, v4, v3, vcc
	global_load_dword v10, v[10:11], off
	v_mov_b32_e32 v4, s23
	global_load_dword v11, v[12:13], off
	v_add_co_u32_e32 v12, vcc, s22, v2
	v_addc_co_u32_e32 v13, vcc, v4, v3, vcc
	v_mov_b32_e32 v4, s1
	v_add_co_u32_e32 v14, vcc, s0, v2
	v_addc_co_u32_e32 v15, vcc, v4, v3, vcc
	global_load_dword v12, v[12:13], off
	v_mov_b32_e32 v4, s3
	global_load_dword v13, v[14:15], off
	v_add_co_u32_e32 v14, vcc, s2, v2
	v_addc_co_u32_e32 v15, vcc, v4, v3, vcc
	global_load_dword v14, v[14:15], off
	s_load_dword s20, s[4:5], 0x0
	v_lshlrev_b32_e32 v15, 2, v0
	s_mov_b32 s23, 1
	s_movk_i32 s24, 0xe000
	s_movk_i32 s25, 0xff80
	s_waitcnt lgkmcnt(0)
	s_cmp_lg_u32 s20, 0
	s_cselect_b64 s[0:1], -1, 0
	s_and_b32 s21, s20, 7
	s_cmp_gt_u32 s20, 7
	s_cselect_b64 s[14:15], -1, 0
	s_and_b32 s22, s20, -8
	s_cmp_lg_u32 s21, 0
	v_cndmask_b32_e64 v4, 0, 1, s[0:1]
	s_cselect_b64 s[16:17], -1, 0
	v_cmp_ne_u32_e64 s[0:1], 1, v4
	s_mov_b32 s26, 0xffe00000
	s_mov_b32 s27, 0x19660d
	;; [unrolled: 1-line block ×3, first 2 shown]
	s_brev_b32 s29, 18
	s_mov_b32 s30, 0x800000
	s_mov_b32 s31, 0xfe5163ab
	;; [unrolled: 1-line block ×10, first 2 shown]
	v_mov_b32_e32 v17, 0xbe2aaa9d
	v_mov_b32_e32 v18, 0x3d2aabf7
	v_mov_b32_e32 v19, 0xbf000004
	s_mov_b32 s41, 0x3f317217
	s_mov_b32 s42, 0xf800000
	v_mov_b32_e32 v21, 0x260
	s_mov_b32 s43, 0x3fb8aa3b
	s_mov_b32 s44, 0xc2ce8ed0
	;; [unrolled: 1-line block ×3, first 2 shown]
	v_not_b32_e32 v22, 63
	v_not_b32_e32 v23, 31
	v_mov_b32_e32 v24, 0x7fc00000
	v_mov_b32_e32 v25, 0x4f800000
	;; [unrolled: 1-line block ×8, first 2 shown]
	s_and_b64 vcc, exec, s[0:1]
	s_cbranch_vccz .LBB0_13
.LBB0_1:
	v_mov_b32_e32 v32, v0
	s_waitcnt vmcnt(1)
	v_mov_b32_e32 v30, v13
	v_mov_b32_e32 v31, v36
.LBB0_2:
	s_and_b64 vcc, exec, s[0:1]
	s_cbranch_vccnz .LBB0_7
; %bb.3:
	s_andn2_b64 vcc, exec, s[14:15]
	s_cbranch_vccnz .LBB0_8
; %bb.4:
	v_lshl_add_u32 v33, v32, 2, v28
	v_mov_b32_e32 v4, 0
	s_mov_b32 s2, s22
.LBB0_5:                                ; =>This Inner Loop Header: Depth=1
	ds_read2st64_b32 v[34:35], v33 offset0:24 offset1:28
	ds_read2st64_b32 v[36:37], v33 offset0:16 offset1:20
	ds_read2st64_b32 v[38:39], v33 offset0:8 offset1:12
	ds_read2st64_b32 v[40:41], v33 offset1:4
	s_add_i32 s2, s2, -8
	s_waitcnt lgkmcnt(3)
	v_sub_f32_e32 v35, v35, v30
	v_sub_f32_e32 v34, v34, v30
	v_max_f32_e32 v35, 0, v35
	s_waitcnt lgkmcnt(2)
	v_sub_f32_e32 v37, v37, v30
	v_max_f32_e32 v34, 0, v34
	v_add_f32_e32 v4, v4, v35
	v_sub_f32_e32 v36, v36, v30
	v_max_f32_e32 v37, 0, v37
	v_add_f32_e32 v4, v4, v34
	s_waitcnt lgkmcnt(1)
	v_sub_f32_e32 v39, v39, v30
	v_max_f32_e32 v36, 0, v36
	v_add_f32_e32 v4, v4, v37
	v_sub_f32_e32 v38, v38, v30
	v_max_f32_e32 v39, 0, v39
	v_add_f32_e32 v4, v4, v36
	;; [unrolled: 7-line block ×3, first 2 shown]
	v_max_f32_e32 v40, 0, v40
	v_add_f32_e32 v4, v4, v41
	v_add_u32_e32 v32, 0xfffff800, v32
	v_add_u32_e32 v33, 0xffffe000, v33
	s_cmp_lg_u32 s2, 0
	v_add_f32_e32 v4, v4, v40
	s_cbranch_scc1 .LBB0_5
; %bb.6:
	s_andn2_b64 vcc, exec, s[16:17]
	s_cbranch_vccz .LBB0_9
	s_branch .LBB0_11
.LBB0_7:
	v_mov_b32_e32 v4, 0
	s_branch .LBB0_11
.LBB0_8:
	v_mov_b32_e32 v4, 0
	s_andn2_b64 vcc, exec, s[16:17]
	s_cbranch_vccnz .LBB0_11
.LBB0_9:
	v_lshl_add_u32 v32, v32, 2, v29
	s_mov_b32 s2, s21
.LBB0_10:                               ; =>This Inner Loop Header: Depth=1
	ds_read_b32 v33, v32
	s_add_i32 s2, s2, -1
	v_add_u32_e32 v32, 0xfffffc00, v32
	s_cmp_lg_u32 s2, 0
	s_waitcnt lgkmcnt(0)
	v_sub_f32_e32 v33, v33, v30
	v_max_f32_e32 v33, 0, v33
	v_add_f32_e32 v4, v4, v33
	s_cbranch_scc1 .LBB0_10
.LBB0_11:
	v_cvt_f32_u32_e32 v30, s23
	v_sub_f32_e32 v32, v4, v20
	s_add_i32 s23, s23, 1
	s_cmpk_eq_i32 s23, 0x201
	v_div_scale_f32 v33, s[2:3], v30, v30, v32
	v_rcp_f32_e32 v34, v33
	v_div_scale_f32 v35, vcc, v32, v30, v32
	v_fma_f32 v36, -v33, v34, 1.0
	v_fmac_f32_e32 v34, v36, v34
	v_mul_f32_e32 v36, v35, v34
	v_fma_f32 v37, -v33, v36, v35
	v_fmac_f32_e32 v36, v37, v34
	v_fma_f32 v33, -v33, v36, v35
	v_div_fmas_f32 v33, v33, v34, v36
	v_div_fixup_f32 v30, v33, v30, v32
	v_add_f32_e32 v20, v20, v30
	v_sub_f32_e32 v4, v4, v20
	v_fmac_f32_e32 v16, v32, v4
	s_cbranch_scc1 .LBB0_27
; %bb.12:
	v_mov_b32_e32 v36, v31
	s_and_b64 vcc, exec, s[0:1]
	s_cbranch_vccnz .LBB0_1
.LBB0_13:
	s_mov_b32 s46, 0
	v_mov_b32_e32 v33, v15
	v_mov_b32_e32 v32, v0
	s_waitcnt vmcnt(1)
	v_mov_b32_e32 v30, v13
	v_mov_b32_e32 v34, v9
	v_mov_b32_e32 v35, v6
                                        ; implicit-def: $vgpr4
.LBB0_14:                               ; =>This Inner Loop Header: Depth=1
	s_bitcmp1_b32 s46, 0
	s_cselect_b64 s[2:3], -1, 0
	s_and_b64 vcc, exec, s[2:3]
	ds_write_b32 v33, v30
	s_cbranch_vccnz .LBB0_21
; %bb.15:                               ;   in Loop: Header=BB0_14 Depth=1
	v_lshlrev_b32_e32 v4, 13, v7
	v_xor_b32_e32 v4, v4, v7
	v_lshrrev_b32_e32 v4, 19, v4
	v_lshlrev_b32_e32 v7, 12, v7
	v_and_or_b32 v38, v7, s24, v4
	v_lshlrev_b32_e32 v4, 2, v1
	v_xor_b32_e32 v4, v4, v1
	v_lshrrev_b32_e32 v4, 25, v4
	v_lshlrev_b32_e32 v31, 4, v1
	v_and_or_b32 v39, v31, s25, v4
	;; [unrolled: 5-line block ×3, first 2 shown]
	v_lshlrev_b32_e32 v8, 13, v38
	v_xor_b32_e32 v7, v8, v7
	v_lshlrev_b32_e32 v1, 6, v1
	v_lshrrev_b32_e32 v7, 19, v7
	v_lshlrev_b32_e32 v8, 12, v38
	v_xor_b32_e32 v1, v1, v31
	v_and_or_b32 v7, v8, s24, v7
	v_lshrrev_b32_e32 v1, 25, v1
	v_lshlrev_b32_e32 v8, 4, v39
	v_and_or_b32 v1, v8, s25, v1
	v_lshlrev_b32_e32 v8, 3, v40
	v_xor_b32_e32 v8, v8, v40
	v_lshrrev_b32_e32 v8, 11, v8
	v_lshlrev_b32_e32 v4, 6, v4
	v_and_or_b32 v8, v4, s26, v8
	v_mul_lo_u32 v4, v36, s28
	v_add_u32_e32 v31, 0x47502932, v4
	v_xor_b32_e32 v4, v7, v31
	v_xor_b32_e32 v4, v4, v1
	;; [unrolled: 1-line block ×3, first 2 shown]
	v_cvt_f32_u32_e32 v4, v4
                                        ; implicit-def: $vgpr42
	v_mul_f32_e32 v4, 0x2f800000, v4
	v_mul_f32_e32 v37, 0x40c90fdb, v4
	v_lshrrev_b32_e32 v4, 23, v37
	v_and_b32_e32 v41, 0x7fffff, v37
	v_cmp_ngt_f32_e32 vcc, s29, v37
	v_add_u32_e32 v44, 0xffffff88, v4
	v_or_b32_e32 v43, 0x800000, v41
                                        ; implicit-def: $vgpr41
	s_and_saveexec_b64 s[2:3], vcc
	s_xor_b64 s[18:19], exec, s[2:3]
	s_cbranch_execz .LBB0_17
; %bb.16:                               ;   in Loop: Header=BB0_14 Depth=1
	v_cmp_lt_u32_e64 s[2:3], 63, v44
	v_cndmask_b32_e64 v4, 0, v22, s[2:3]
	v_add_u32_e32 v4, v4, v44
	v_cmp_lt_u32_e64 s[4:5], 31, v4
	v_cndmask_b32_e64 v41, 0, v23, s[4:5]
	v_add_u32_e32 v4, v41, v4
	v_cmp_lt_u32_e64 s[6:7], 31, v4
	v_cndmask_b32_e64 v41, 0, v23, s[6:7]
	v_mad_u64_u32 v[46:47], s[8:9], v43, s31, 0
	v_add_u32_e32 v41, v41, v4
	v_mov_b32_e32 v4, v47
	v_mad_u64_u32 v[48:49], s[8:9], v43, s33, v[4:5]
	v_mov_b32_e32 v4, v49
	v_mad_u64_u32 v[50:51], s[8:9], v43, s34, v[4:5]
	;; [unrolled: 2-line block ×6, first 2 shown]
	v_cndmask_b32_e64 v42, v56, v52, s[2:3]
	v_cndmask_b32_e64 v4, v58, v54, s[2:3]
	;; [unrolled: 1-line block ×7, first 2 shown]
	v_sub_u32_e32 v49, 32, v41
	v_cmp_eq_u32_e64 s[8:9], 0, v41
	v_cndmask_b32_e64 v41, v52, v48, s[2:3]
	v_cndmask_b32_e64 v4, v4, v45, s[6:7]
	;; [unrolled: 1-line block ×4, first 2 shown]
	v_alignbit_b32 v51, v4, v45, v49
	v_cndmask_b32_e64 v42, v42, v47, s[6:7]
	v_cndmask_b32_e64 v4, v51, v4, s[8:9]
	v_alignbit_b32 v48, v45, v42, v49
	v_cndmask_b32_e64 v46, v50, v46, s[2:3]
	v_cndmask_b32_e64 v45, v48, v45, s[8:9]
	v_bfe_u32 v52, v4, 29, 1
	v_cndmask_b32_e64 v41, v41, v46, s[4:5]
	v_alignbit_b32 v48, v4, v45, 30
	v_sub_u32_e32 v53, 0, v52
	v_cndmask_b32_e64 v41, v47, v41, s[6:7]
	v_xor_b32_e32 v54, v48, v53
	v_alignbit_b32 v46, v42, v41, v49
	v_cndmask_b32_e64 v42, v46, v42, s[8:9]
	v_ffbh_u32_e32 v46, v54
	v_add_u32_e32 v46, 1, v46
	v_cmp_ne_u32_e64 s[2:3], v48, v53
	v_alignbit_b32 v45, v45, v42, 30
	v_cndmask_b32_e64 v46, 33, v46, s[2:3]
	v_alignbit_b32 v41, v42, v41, 30
	v_xor_b32_e32 v45, v45, v53
	v_sub_u32_e32 v47, 32, v46
	v_xor_b32_e32 v41, v41, v53
	v_alignbit_b32 v48, v54, v45, v47
	v_alignbit_b32 v41, v45, v41, v47
	;; [unrolled: 1-line block ×3, first 2 shown]
	v_ffbh_u32_e32 v45, v42
	v_min_u32_e32 v45, 32, v45
	v_lshrrev_b32_e32 v51, 29, v4
	v_sub_u32_e32 v47, 31, v45
	v_alignbit_b32 v41, v42, v41, v47
	v_lshlrev_b32_e32 v42, 31, v51
	v_or_b32_e32 v47, 0x33800000, v42
	v_add_lshl_u32 v45, v45, v46, 23
	v_lshrrev_b32_e32 v41, 9, v41
	v_sub_u32_e32 v45, v47, v45
	v_or_b32_e32 v41, v45, v41
	v_alignbit_b32 v45, v46, v48, 9
	v_or_b32_e32 v42, v45, v42
	v_xor_b32_e32 v42, 1.0, v42
	v_mul_f32_e32 v45, 0x3fc90fda, v42
	v_fma_f32 v46, v42, s39, -v45
	v_fmac_f32_e32 v46, 0x33a22168, v42
	v_fmac_f32_e32 v46, 0x3fc90fda, v41
	v_lshrrev_b32_e32 v4, 30, v4
	v_add_f32_e32 v41, v45, v46
	v_add_u32_e32 v42, v52, v4
.LBB0_17:                               ;   in Loop: Header=BB0_14 Depth=1
	s_or_saveexec_b64 s[2:3], s[18:19]
	v_mul_f32_e32 v4, 0x3f22f983, v37
	v_rndne_f32_e32 v46, v4
	s_xor_b64 exec, exec, s[2:3]
; %bb.18:                               ;   in Loop: Header=BB0_14 Depth=1
	v_mov_b32_e32 v41, v37
	v_cvt_i32_f32_e32 v42, v46
	v_fmac_f32_e32 v41, 0xbfc90fda, v46
	v_fmac_f32_e32 v41, 0xb3a22168, v46
	;; [unrolled: 1-line block ×3, first 2 shown]
; %bb.19:                               ;   in Loop: Header=BB0_14 Depth=1
	s_or_b64 exec, exec, s[2:3]
                                        ; implicit-def: $vgpr45
                                        ; implicit-def: $vgpr4
	s_and_saveexec_b64 s[2:3], vcc
	s_xor_b64 s[8:9], exec, s[2:3]
	s_cbranch_execz .LBB0_22
; %bb.20:                               ;   in Loop: Header=BB0_14 Depth=1
	v_cmp_lt_u32_e32 vcc, 63, v44
	v_cndmask_b32_e32 v4, 0, v22, vcc
	v_add_u32_e32 v4, v4, v44
	v_cmp_lt_u32_e64 s[2:3], 31, v4
	v_cndmask_b32_e64 v44, 0, v23, s[2:3]
	v_add_u32_e32 v4, v44, v4
	v_cmp_lt_u32_e64 s[4:5], 31, v4
	v_cndmask_b32_e64 v44, 0, v23, s[4:5]
	v_add_u32_e32 v58, v44, v4
	v_mad_u64_u32 v[44:45], s[6:7], v43, s31, 0
	v_mov_b32_e32 v4, v45
	v_mad_u64_u32 v[46:47], s[6:7], v43, s33, v[4:5]
	v_mov_b32_e32 v4, v47
	v_mad_u64_u32 v[48:49], s[6:7], v43, s34, v[4:5]
	v_mov_b32_e32 v4, v49
	v_mad_u64_u32 v[50:51], s[6:7], v43, s35, v[4:5]
	v_mov_b32_e32 v4, v51
	v_mad_u64_u32 v[52:53], s[6:7], v43, s36, v[4:5]
	v_mov_b32_e32 v4, v53
	v_mad_u64_u32 v[54:55], s[6:7], v43, s37, v[4:5]
	v_mov_b32_e32 v4, v55
	v_mad_u64_u32 v[56:57], s[6:7], v43, s38, v[4:5]
	v_cndmask_b32_e32 v45, v54, v50, vcc
	v_cndmask_b32_e32 v4, v56, v52, vcc
	v_cndmask_b32_e32 v47, v57, v54, vcc
	v_cndmask_b32_e64 v43, v4, v45, s[2:3]
	v_cndmask_b32_e64 v4, v47, v4, s[2:3]
	v_cndmask_b32_e32 v47, v52, v48, vcc
	v_cndmask_b32_e64 v45, v45, v47, s[2:3]
	v_cndmask_b32_e64 v4, v4, v43, s[4:5]
	;; [unrolled: 1-line block ×3, first 2 shown]
	v_sub_u32_e32 v49, 32, v58
	v_alignbit_b32 v51, v4, v43, v49
	v_cmp_eq_u32_e64 s[6:7], 0, v58
	v_cndmask_b32_e64 v51, v51, v4, s[6:7]
	v_cndmask_b32_e32 v4, v50, v46, vcc
	v_cndmask_b32_e64 v46, v47, v4, s[2:3]
	v_cndmask_b32_e64 v45, v45, v46, s[4:5]
	v_alignbit_b32 v47, v43, v45, v49
	v_cndmask_b32_e32 v44, v48, v44, vcc
	v_cndmask_b32_e64 v43, v47, v43, s[6:7]
	v_bfe_u32 v52, v51, 29, 1
	v_cndmask_b32_e64 v4, v4, v44, s[2:3]
	v_alignbit_b32 v47, v51, v43, 30
	v_sub_u32_e32 v53, 0, v52
	v_cndmask_b32_e64 v4, v46, v4, s[4:5]
	v_xor_b32_e32 v54, v47, v53
	v_alignbit_b32 v44, v45, v4, v49
	v_cndmask_b32_e64 v44, v44, v45, s[6:7]
	v_ffbh_u32_e32 v45, v54
	v_add_u32_e32 v45, 1, v45
	v_cmp_ne_u32_e32 vcc, v47, v53
	v_alignbit_b32 v43, v43, v44, 30
	v_cndmask_b32_e32 v45, 33, v45, vcc
	v_alignbit_b32 v4, v44, v4, 30
	v_xor_b32_e32 v43, v43, v53
	v_sub_u32_e32 v46, 32, v45
	v_xor_b32_e32 v4, v4, v53
	v_alignbit_b32 v47, v54, v43, v46
	v_alignbit_b32 v4, v43, v4, v46
	;; [unrolled: 1-line block ×3, first 2 shown]
	v_ffbh_u32_e32 v44, v43
	v_min_u32_e32 v44, 32, v44
	v_lshrrev_b32_e32 v50, 29, v51
	v_sub_u32_e32 v46, 31, v44
	v_alignbit_b32 v4, v43, v4, v46
	v_lshlrev_b32_e32 v43, 31, v50
	v_or_b32_e32 v46, 0x33800000, v43
	v_add_lshl_u32 v44, v44, v45, 23
	v_lshrrev_b32_e32 v4, 9, v4
	v_sub_u32_e32 v44, v46, v44
	v_or_b32_e32 v4, v44, v4
	v_alignbit_b32 v44, v45, v47, 9
	v_or_b32_e32 v43, v44, v43
	v_xor_b32_e32 v43, 1.0, v43
	v_mul_f32_e32 v44, 0x3fc90fda, v43
	v_fma_f32 v45, v43, s39, -v44
	v_fmac_f32_e32 v45, 0x33a22168, v43
	v_fmac_f32_e32 v45, 0x3fc90fda, v4
	v_lshrrev_b32_e32 v43, 30, v51
	v_add_f32_e32 v4, v44, v45
	v_add_u32_e32 v45, v52, v43
                                        ; implicit-def: $vgpr46
	s_andn2_saveexec_b64 s[2:3], s[8:9]
	s_cbranch_execnz .LBB0_23
	s_branch .LBB0_24
.LBB0_21:                               ;   in Loop: Header=BB0_14 Depth=1
	v_mov_b32_e32 v37, v4
	v_mov_b32_e32 v31, v36
	s_branch .LBB0_25
.LBB0_22:                               ;   in Loop: Header=BB0_14 Depth=1
	s_andn2_saveexec_b64 s[2:3], s[8:9]
.LBB0_23:                               ;   in Loop: Header=BB0_14 Depth=1
	v_mov_b32_e32 v4, v37
	v_cvt_i32_f32_e32 v45, v46
	v_fmac_f32_e32 v4, 0xbfc90fda, v46
	v_fmac_f32_e32 v4, 0xb3a22168, v46
	;; [unrolled: 1-line block ×3, first 2 shown]
.LBB0_24:                               ;   in Loop: Header=BB0_14 Depth=1
	s_or_b64 exec, exec, s[2:3]
	v_mul_lo_u32 v36, v36, s27
	v_add_u32_e32 v36, 0x3c6ef35f, v36
	v_xor_b32_e32 v38, v39, v38
	v_xor_b32_e32 v36, v38, v36
	;; [unrolled: 1-line block ×3, first 2 shown]
	v_lshlrev_b32_e32 v38, 30, v42
	v_and_b32_e32 v39, 1, v42
	v_mul_f32_e32 v40, v41, v41
	v_mov_b32_e32 v42, 0x3c0881c4
	v_fmac_f32_e32 v42, 0xb94c1982, v40
	v_cvt_f32_u32_e32 v36, v36
	v_fma_f32 v42, v40, v42, v17
	v_mul_f32_e32 v42, v40, v42
	v_fmac_f32_e32 v41, v41, v42
	v_mov_b32_e32 v42, 0xbab64f3b
	v_fmac_f32_e32 v42, 0x37d75334, v40
	v_mul_f32_e32 v36, 0x2f800000, v36
	v_fma_f32 v42, v40, v42, v18
	v_fma_f32 v42, v40, v42, v19
	v_cmp_gt_f32_e32 vcc, s30, v36
	v_fma_f32 v40, v40, v42, 1.0
	v_cndmask_b32_e32 v42, 1.0, v25, vcc
	v_mul_f32_e32 v36, v36, v42
	v_log_f32_e32 v36, v36
	v_and_b32_e32 v38, 0x80000000, v38
	v_cmp_eq_u32_e64 s[2:3], 0, v39
	v_cndmask_b32_e64 v39, v40, v41, s[2:3]
	v_xor_b32_e32 v38, v38, v37
	v_xor_b32_e32 v38, v38, v39
	v_mul_f32_e32 v39, 0x3f317217, v36
	v_fma_f32 v40, v36, s41, -v39
	v_fmac_f32_e32 v40, 0x3377d1cf, v36
	v_add_f32_e32 v39, v39, v40
	v_cmp_lt_f32_e64 s[2:3], |v36|, s40
	v_cndmask_b32_e64 v36, v36, v39, s[2:3]
	v_cndmask_b32_e32 v39, 0, v26, vcc
	v_sub_f32_e32 v36, v36, v39
	v_mul_f32_e32 v36, -2.0, v36
	v_mul_f32_e32 v39, 0x4f800000, v36
	v_cmp_gt_f32_e32 vcc, s42, v36
	v_cndmask_b32_e32 v36, v36, v39, vcc
	v_sqrt_f32_e32 v39, v36
	v_xor_b32_e32 v38, v38, v37
	v_cmp_lg_f32_e64 s[2:3], s40, v37
	v_cndmask_b32_e64 v37, v24, v38, s[2:3]
	v_add_u32_e32 v38, -1, v39
	v_fma_f32 v40, -v38, v39, v36
	v_cmp_ge_f32_e64 s[4:5], 0, v40
	v_add_u32_e32 v40, 1, v39
	v_cndmask_b32_e64 v38, v39, v38, s[4:5]
	v_fma_f32 v39, -v40, v39, v36
	v_cmp_lt_f32_e64 s[4:5], 0, v39
	v_cndmask_b32_e64 v38, v38, v40, s[4:5]
	v_mul_f32_e32 v39, 0x37800000, v38
	v_cndmask_b32_e32 v38, v38, v39, vcc
	v_cmp_class_f32_e32 vcc, v36, v21
	v_cndmask_b32_e32 v36, v38, v36, vcc
	v_mul_f32_e32 v38, v4, v4
	v_mov_b32_e32 v39, 0x3c0881c4
	v_fmac_f32_e32 v39, 0xb94c1982, v38
	v_fma_f32 v39, v38, v39, v17
	v_mul_f32_e32 v39, v38, v39
	v_fmac_f32_e32 v4, v4, v39
	v_mov_b32_e32 v39, 0xbab64f3b
	v_fmac_f32_e32 v39, 0x37d75334, v38
	v_fma_f32 v39, v38, v39, v18
	v_fma_f32 v39, v38, v39, v19
	v_fma_f32 v38, v38, v39, 1.0
	v_and_b32_e32 v39, 1, v45
	v_cmp_eq_u32_e32 vcc, 0, v39
	v_cndmask_b32_e64 v4, -v4, v38, vcc
	v_lshlrev_b32_e32 v38, 30, v45
	v_and_b32_e32 v38, 0x80000000, v38
	v_xor_b32_e32 v4, v38, v4
	v_cndmask_b32_e64 v4, v24, v4, s[2:3]
	v_mul_f32_e32 v37, v36, v37
	v_mul_f32_e32 v4, v36, v4
.LBB0_25:                               ;   in Loop: Header=BB0_14 Depth=1
	v_mul_f32_e32 v36, v11, v35
	v_fma_f32 v35, v35, v36, v10
	v_mul_f32_e32 v36, v12, v34
	v_fmac_f32_e32 v35, v34, v36
	v_mul_f32_e32 v34, 0x4f800000, v35
	v_cmp_gt_f32_e32 vcc, s42, v35
	v_cndmask_b32_e32 v34, v35, v34, vcc
	v_sqrt_f32_e32 v35, v34
	s_add_i32 s46, s46, 1
	v_add_u32_e32 v33, 0x400, v33
	s_cmp_eq_u32 s20, s46
	v_add_u32_e32 v36, -1, v35
	v_fma_f32 v38, -v36, v35, v34
	v_cmp_ge_f32_e64 s[2:3], 0, v38
	v_add_u32_e32 v38, 1, v35
	v_cndmask_b32_e64 v36, v35, v36, s[2:3]
	v_fma_f32 v35, -v38, v35, v34
	v_cmp_lt_f32_e64 s[2:3], 0, v35
	v_cndmask_b32_e64 v35, v36, v38, s[2:3]
	v_mul_f32_e32 v36, 0x37800000, v35
	v_cndmask_b32_e32 v35, v35, v36, vcc
	v_cmp_class_f32_e32 vcc, v34, v21
	v_cndmask_b32_e32 v35, v35, v34, vcc
	v_mul_f32_e32 v34, v35, v37
	v_min_f32_e32 v34, 1.0, v34
	v_max_f32_e32 v34, -1.0, v34
	s_waitcnt vmcnt(0)
	v_add_f32_e32 v36, v14, v34
	v_mul_f32_e32 v37, 0x3fb8aa3b, v36
	v_fma_f32 v38, v36, s43, -v37
	v_rndne_f32_e32 v39, v37
	v_fmac_f32_e32 v38, 0x32a5705f, v36
	v_sub_f32_e32 v37, v37, v39
	v_add_f32_e32 v37, v37, v38
	v_exp_f32_e32 v37, v37
	v_cvt_i32_f32_e32 v38, v39
	v_cmp_ngt_f32_e32 vcc, s44, v36
	v_add_u32_e32 v32, 0x100, v32
	v_ldexp_f32 v37, v37, v38
	v_cndmask_b32_e32 v37, 0, v37, vcc
	v_cmp_nlt_f32_e32 vcc, s45, v36
	v_cndmask_b32_e32 v36, v27, v37, vcc
	v_mul_f32_e32 v30, v30, v36
	s_cbranch_scc1 .LBB0_2
; %bb.26:                               ;   in Loop: Header=BB0_14 Depth=1
	v_mov_b32_e32 v36, v31
	s_branch .LBB0_14
.LBB0_27:
	s_mov_b32 s2, 0x43ff8000
	v_div_scale_f32 v4, s[0:1], s2, s2, v16
	v_rcp_f32_e32 v5, v4
	v_mov_b32_e32 v1, s11
	v_add_co_u32_e32 v0, vcc, s10, v2
	v_addc_co_u32_e32 v1, vcc, v1, v3, vcc
	global_store_dword v[0:1], v20, off
	v_fma_f32 v0, -v4, v5, 1.0
	v_fmac_f32_e32 v5, v0, v5
	v_div_scale_f32 v0, vcc, v16, s2, v16
	v_mul_f32_e32 v1, v0, v5
	v_fma_f32 v6, -v4, v1, v0
	v_fmac_f32_e32 v1, v6, v5
	v_fma_f32 v0, -v4, v1, v0
	v_div_fmas_f32 v0, v0, v5, v1
	v_div_fixup_f32 v4, v0, s2, v16
	v_mov_b32_e32 v1, s13
	v_add_co_u32_e32 v0, vcc, s12, v2
	v_addc_co_u32_e32 v1, vcc, v1, v3, vcc
	global_store_dword v[0:1], v4, off
	s_endpgm
	.section	.rodata,"a",@progbits
	.p2align	6, 0x0
	.amdhsa_kernel _Z19tausworthe_lookbackjPKjPfS1_PKfS3_S3_S3_S3_S3_S3_
		.amdhsa_group_segment_fixed_size 15360
		.amdhsa_private_segment_fixed_size 0
		.amdhsa_kernarg_size 344
		.amdhsa_user_sgpr_count 6
		.amdhsa_user_sgpr_private_segment_buffer 1
		.amdhsa_user_sgpr_dispatch_ptr 0
		.amdhsa_user_sgpr_queue_ptr 0
		.amdhsa_user_sgpr_kernarg_segment_ptr 1
		.amdhsa_user_sgpr_dispatch_id 0
		.amdhsa_user_sgpr_flat_scratch_init 0
		.amdhsa_user_sgpr_kernarg_preload_length 0
		.amdhsa_user_sgpr_kernarg_preload_offset 0
		.amdhsa_user_sgpr_private_segment_size 0
		.amdhsa_uses_dynamic_stack 0
		.amdhsa_system_sgpr_private_segment_wavefront_offset 0
		.amdhsa_system_sgpr_workgroup_id_x 1
		.amdhsa_system_sgpr_workgroup_id_y 0
		.amdhsa_system_sgpr_workgroup_id_z 0
		.amdhsa_system_sgpr_workgroup_info 0
		.amdhsa_system_vgpr_workitem_id 0
		.amdhsa_next_free_vgpr 60
		.amdhsa_next_free_sgpr 47
		.amdhsa_accum_offset 60
		.amdhsa_reserve_vcc 1
		.amdhsa_reserve_flat_scratch 0
		.amdhsa_float_round_mode_32 0
		.amdhsa_float_round_mode_16_64 0
		.amdhsa_float_denorm_mode_32 3
		.amdhsa_float_denorm_mode_16_64 3
		.amdhsa_dx10_clamp 1
		.amdhsa_ieee_mode 1
		.amdhsa_fp16_overflow 0
		.amdhsa_tg_split 0
		.amdhsa_exception_fp_ieee_invalid_op 0
		.amdhsa_exception_fp_denorm_src 0
		.amdhsa_exception_fp_ieee_div_zero 0
		.amdhsa_exception_fp_ieee_overflow 0
		.amdhsa_exception_fp_ieee_underflow 0
		.amdhsa_exception_fp_ieee_inexact 0
		.amdhsa_exception_int_div_zero 0
	.end_amdhsa_kernel
	.text
.Lfunc_end0:
	.size	_Z19tausworthe_lookbackjPKjPfS1_PKfS3_S3_S3_S3_S3_S3_, .Lfunc_end0-_Z19tausworthe_lookbackjPKjPfS1_PKfS3_S3_S3_S3_S3_S3_
                                        ; -- End function
	.section	.AMDGPU.csdata,"",@progbits
; Kernel info:
; codeLenInByte = 3368
; NumSgprs: 51
; NumVgprs: 60
; NumAgprs: 0
; TotalNumVgprs: 60
; ScratchSize: 0
; MemoryBound: 0
; FloatMode: 240
; IeeeMode: 1
; LDSByteSize: 15360 bytes/workgroup (compile time only)
; SGPRBlocks: 6
; VGPRBlocks: 7
; NumSGPRsForWavesPerEU: 51
; NumVGPRsForWavesPerEU: 60
; AccumOffset: 60
; Occupancy: 8
; WaveLimiterHint : 0
; COMPUTE_PGM_RSRC2:SCRATCH_EN: 0
; COMPUTE_PGM_RSRC2:USER_SGPR: 6
; COMPUTE_PGM_RSRC2:TRAP_HANDLER: 0
; COMPUTE_PGM_RSRC2:TGID_X_EN: 1
; COMPUTE_PGM_RSRC2:TGID_Y_EN: 0
; COMPUTE_PGM_RSRC2:TGID_Z_EN: 0
; COMPUTE_PGM_RSRC2:TIDIG_COMP_CNT: 0
; COMPUTE_PGM_RSRC3_GFX90A:ACCUM_OFFSET: 14
; COMPUTE_PGM_RSRC3_GFX90A:TG_SPLIT: 0
	.text
	.p2alignl 6, 3212836864
	.fill 256, 4, 3212836864
	.type	__hip_cuid_e0c7cfb85ba90b6c,@object ; @__hip_cuid_e0c7cfb85ba90b6c
	.section	.bss,"aw",@nobits
	.globl	__hip_cuid_e0c7cfb85ba90b6c
__hip_cuid_e0c7cfb85ba90b6c:
	.byte	0                               ; 0x0
	.size	__hip_cuid_e0c7cfb85ba90b6c, 1

	.ident	"AMD clang version 19.0.0git (https://github.com/RadeonOpenCompute/llvm-project roc-6.4.0 25133 c7fe45cf4b819c5991fe208aaa96edf142730f1d)"
	.section	".note.GNU-stack","",@progbits
	.addrsig
	.addrsig_sym __hip_cuid_e0c7cfb85ba90b6c
	.amdgpu_metadata
---
amdhsa.kernels:
  - .agpr_count:     0
    .args:
      - .offset:         0
        .size:           4
        .value_kind:     by_value
      - .actual_access:  read_only
        .address_space:  global
        .offset:         8
        .size:           8
        .value_kind:     global_buffer
      - .actual_access:  write_only
        .address_space:  global
        .offset:         16
        .size:           8
        .value_kind:     global_buffer
      - .actual_access:  write_only
        .address_space:  global
        .offset:         24
        .size:           8
        .value_kind:     global_buffer
      - .actual_access:  read_only
        .address_space:  global
        .offset:         32
        .size:           8
        .value_kind:     global_buffer
      - .actual_access:  read_only
        .address_space:  global
        .offset:         40
        .size:           8
        .value_kind:     global_buffer
      - .actual_access:  read_only
        .address_space:  global
        .offset:         48
        .size:           8
        .value_kind:     global_buffer
      - .actual_access:  read_only
        .address_space:  global
        .offset:         56
        .size:           8
        .value_kind:     global_buffer
      - .actual_access:  read_only
        .address_space:  global
        .offset:         64
        .size:           8
        .value_kind:     global_buffer
      - .actual_access:  read_only
        .address_space:  global
        .offset:         72
        .size:           8
        .value_kind:     global_buffer
      - .actual_access:  read_only
        .address_space:  global
        .offset:         80
        .size:           8
        .value_kind:     global_buffer
      - .offset:         88
        .size:           4
        .value_kind:     hidden_block_count_x
      - .offset:         92
        .size:           4
        .value_kind:     hidden_block_count_y
      - .offset:         96
        .size:           4
        .value_kind:     hidden_block_count_z
      - .offset:         100
        .size:           2
        .value_kind:     hidden_group_size_x
      - .offset:         102
        .size:           2
        .value_kind:     hidden_group_size_y
      - .offset:         104
        .size:           2
        .value_kind:     hidden_group_size_z
      - .offset:         106
        .size:           2
        .value_kind:     hidden_remainder_x
      - .offset:         108
        .size:           2
        .value_kind:     hidden_remainder_y
      - .offset:         110
        .size:           2
        .value_kind:     hidden_remainder_z
      - .offset:         128
        .size:           8
        .value_kind:     hidden_global_offset_x
      - .offset:         136
        .size:           8
        .value_kind:     hidden_global_offset_y
      - .offset:         144
        .size:           8
        .value_kind:     hidden_global_offset_z
      - .offset:         152
        .size:           2
        .value_kind:     hidden_grid_dims
    .group_segment_fixed_size: 15360
    .kernarg_segment_align: 8
    .kernarg_segment_size: 344
    .language:       OpenCL C
    .language_version:
      - 2
      - 0
    .max_flat_workgroup_size: 1024
    .name:           _Z19tausworthe_lookbackjPKjPfS1_PKfS3_S3_S3_S3_S3_S3_
    .private_segment_fixed_size: 0
    .sgpr_count:     51
    .sgpr_spill_count: 0
    .symbol:         _Z19tausworthe_lookbackjPKjPfS1_PKfS3_S3_S3_S3_S3_S3_.kd
    .uniform_work_group_size: 1
    .uses_dynamic_stack: false
    .vgpr_count:     60
    .vgpr_spill_count: 0
    .wavefront_size: 64
amdhsa.target:   amdgcn-amd-amdhsa--gfx90a
amdhsa.version:
  - 1
  - 2
...

	.end_amdgpu_metadata
